;; amdgpu-corpus repo=ROCm/rocFFT kind=compiled arch=gfx906 opt=O3
	.text
	.amdgcn_target "amdgcn-amd-amdhsa--gfx906"
	.amdhsa_code_object_version 6
	.protected	fft_rtc_fwd_len968_factors_2_2_2_11_11_wgs_176_tpt_88_sp_ip_CI_unitstride_sbrr_R2C_dirReg ; -- Begin function fft_rtc_fwd_len968_factors_2_2_2_11_11_wgs_176_tpt_88_sp_ip_CI_unitstride_sbrr_R2C_dirReg
	.globl	fft_rtc_fwd_len968_factors_2_2_2_11_11_wgs_176_tpt_88_sp_ip_CI_unitstride_sbrr_R2C_dirReg
	.p2align	8
	.type	fft_rtc_fwd_len968_factors_2_2_2_11_11_wgs_176_tpt_88_sp_ip_CI_unitstride_sbrr_R2C_dirReg,@function
fft_rtc_fwd_len968_factors_2_2_2_11_11_wgs_176_tpt_88_sp_ip_CI_unitstride_sbrr_R2C_dirReg: ; @fft_rtc_fwd_len968_factors_2_2_2_11_11_wgs_176_tpt_88_sp_ip_CI_unitstride_sbrr_R2C_dirReg
; %bb.0:
	s_load_dwordx2 s[12:13], s[4:5], 0x50
	s_load_dwordx4 s[8:11], s[4:5], 0x0
	s_load_dwordx2 s[2:3], s[4:5], 0x18
	v_mul_u32_u24_e32 v1, 0x2e9, v0
	v_lshrrev_b32_e32 v9, 16, v1
	v_mov_b32_e32 v3, 0
	s_waitcnt lgkmcnt(0)
	v_cmp_lt_u64_e64 s[0:1], s[10:11], 2
	v_mov_b32_e32 v1, 0
	v_lshl_add_u32 v5, s6, 1, v9
	v_mov_b32_e32 v6, v3
	s_and_b64 vcc, exec, s[0:1]
	v_mov_b32_e32 v2, 0
	s_cbranch_vccnz .LBB0_8
; %bb.1:
	s_load_dwordx2 s[0:1], s[4:5], 0x10
	s_add_u32 s6, s2, 8
	s_addc_u32 s7, s3, 0
	v_mov_b32_e32 v1, 0
	v_mov_b32_e32 v2, 0
	s_waitcnt lgkmcnt(0)
	s_add_u32 s14, s0, 8
	s_addc_u32 s15, s1, 0
	s_mov_b64 s[16:17], 1
.LBB0_2:                                ; =>This Inner Loop Header: Depth=1
	s_load_dwordx2 s[18:19], s[14:15], 0x0
                                        ; implicit-def: $vgpr7_vgpr8
	s_waitcnt lgkmcnt(0)
	v_or_b32_e32 v4, s19, v6
	v_cmp_ne_u64_e32 vcc, 0, v[3:4]
	s_and_saveexec_b64 s[0:1], vcc
	s_xor_b64 s[20:21], exec, s[0:1]
	s_cbranch_execz .LBB0_4
; %bb.3:                                ;   in Loop: Header=BB0_2 Depth=1
	v_cvt_f32_u32_e32 v4, s18
	v_cvt_f32_u32_e32 v7, s19
	s_sub_u32 s0, 0, s18
	s_subb_u32 s1, 0, s19
	v_mac_f32_e32 v4, 0x4f800000, v7
	v_rcp_f32_e32 v4, v4
	v_mul_f32_e32 v4, 0x5f7ffffc, v4
	v_mul_f32_e32 v7, 0x2f800000, v4
	v_trunc_f32_e32 v7, v7
	v_mac_f32_e32 v4, 0xcf800000, v7
	v_cvt_u32_f32_e32 v7, v7
	v_cvt_u32_f32_e32 v4, v4
	v_mul_lo_u32 v8, s0, v7
	v_mul_hi_u32 v10, s0, v4
	v_mul_lo_u32 v12, s1, v4
	v_mul_lo_u32 v11, s0, v4
	v_add_u32_e32 v8, v10, v8
	v_add_u32_e32 v8, v8, v12
	v_mul_hi_u32 v10, v4, v11
	v_mul_lo_u32 v12, v4, v8
	v_mul_hi_u32 v14, v4, v8
	v_mul_hi_u32 v13, v7, v11
	v_mul_lo_u32 v11, v7, v11
	v_mul_hi_u32 v15, v7, v8
	v_add_co_u32_e32 v10, vcc, v10, v12
	v_addc_co_u32_e32 v12, vcc, 0, v14, vcc
	v_mul_lo_u32 v8, v7, v8
	v_add_co_u32_e32 v10, vcc, v10, v11
	v_addc_co_u32_e32 v10, vcc, v12, v13, vcc
	v_addc_co_u32_e32 v11, vcc, 0, v15, vcc
	v_add_co_u32_e32 v8, vcc, v10, v8
	v_addc_co_u32_e32 v10, vcc, 0, v11, vcc
	v_add_co_u32_e32 v4, vcc, v4, v8
	v_addc_co_u32_e32 v7, vcc, v7, v10, vcc
	v_mul_lo_u32 v8, s0, v7
	v_mul_hi_u32 v10, s0, v4
	v_mul_lo_u32 v11, s1, v4
	v_mul_lo_u32 v12, s0, v4
	v_add_u32_e32 v8, v10, v8
	v_add_u32_e32 v8, v8, v11
	v_mul_lo_u32 v13, v4, v8
	v_mul_hi_u32 v14, v4, v12
	v_mul_hi_u32 v15, v4, v8
	;; [unrolled: 1-line block ×3, first 2 shown]
	v_mul_lo_u32 v12, v7, v12
	v_mul_hi_u32 v10, v7, v8
	v_add_co_u32_e32 v13, vcc, v14, v13
	v_addc_co_u32_e32 v14, vcc, 0, v15, vcc
	v_mul_lo_u32 v8, v7, v8
	v_add_co_u32_e32 v12, vcc, v13, v12
	v_addc_co_u32_e32 v11, vcc, v14, v11, vcc
	v_addc_co_u32_e32 v10, vcc, 0, v10, vcc
	v_add_co_u32_e32 v8, vcc, v11, v8
	v_addc_co_u32_e32 v10, vcc, 0, v10, vcc
	v_add_co_u32_e32 v4, vcc, v4, v8
	v_addc_co_u32_e32 v10, vcc, v7, v10, vcc
	v_mad_u64_u32 v[7:8], s[0:1], v5, v10, 0
	v_mul_hi_u32 v11, v5, v4
	v_add_co_u32_e32 v12, vcc, v11, v7
	v_addc_co_u32_e32 v13, vcc, 0, v8, vcc
	v_mad_u64_u32 v[7:8], s[0:1], v6, v4, 0
	v_mad_u64_u32 v[10:11], s[0:1], v6, v10, 0
	v_add_co_u32_e32 v4, vcc, v12, v7
	v_addc_co_u32_e32 v4, vcc, v13, v8, vcc
	v_addc_co_u32_e32 v7, vcc, 0, v11, vcc
	v_add_co_u32_e32 v4, vcc, v4, v10
	v_addc_co_u32_e32 v10, vcc, 0, v7, vcc
	v_mul_lo_u32 v11, s19, v4
	v_mul_lo_u32 v12, s18, v10
	v_mad_u64_u32 v[7:8], s[0:1], s18, v4, 0
	v_add3_u32 v8, v8, v12, v11
	v_sub_u32_e32 v11, v6, v8
	v_mov_b32_e32 v12, s19
	v_sub_co_u32_e32 v7, vcc, v5, v7
	v_subb_co_u32_e64 v11, s[0:1], v11, v12, vcc
	v_subrev_co_u32_e64 v12, s[0:1], s18, v7
	v_subbrev_co_u32_e64 v11, s[0:1], 0, v11, s[0:1]
	v_cmp_le_u32_e64 s[0:1], s19, v11
	v_cndmask_b32_e64 v13, 0, -1, s[0:1]
	v_cmp_le_u32_e64 s[0:1], s18, v12
	v_cndmask_b32_e64 v12, 0, -1, s[0:1]
	v_cmp_eq_u32_e64 s[0:1], s19, v11
	v_cndmask_b32_e64 v11, v13, v12, s[0:1]
	v_add_co_u32_e64 v12, s[0:1], 2, v4
	v_addc_co_u32_e64 v13, s[0:1], 0, v10, s[0:1]
	v_add_co_u32_e64 v14, s[0:1], 1, v4
	v_addc_co_u32_e64 v15, s[0:1], 0, v10, s[0:1]
	v_subb_co_u32_e32 v8, vcc, v6, v8, vcc
	v_cmp_ne_u32_e64 s[0:1], 0, v11
	v_cmp_le_u32_e32 vcc, s19, v8
	v_cndmask_b32_e64 v11, v15, v13, s[0:1]
	v_cndmask_b32_e64 v13, 0, -1, vcc
	v_cmp_le_u32_e32 vcc, s18, v7
	v_cndmask_b32_e64 v7, 0, -1, vcc
	v_cmp_eq_u32_e32 vcc, s19, v8
	v_cndmask_b32_e32 v7, v13, v7, vcc
	v_cmp_ne_u32_e32 vcc, 0, v7
	v_cndmask_b32_e64 v7, v14, v12, s[0:1]
	v_cndmask_b32_e32 v8, v10, v11, vcc
	v_cndmask_b32_e32 v7, v4, v7, vcc
.LBB0_4:                                ;   in Loop: Header=BB0_2 Depth=1
	s_andn2_saveexec_b64 s[0:1], s[20:21]
	s_cbranch_execz .LBB0_6
; %bb.5:                                ;   in Loop: Header=BB0_2 Depth=1
	v_cvt_f32_u32_e32 v4, s18
	s_sub_i32 s20, 0, s18
	v_rcp_iflag_f32_e32 v4, v4
	v_mul_f32_e32 v4, 0x4f7ffffe, v4
	v_cvt_u32_f32_e32 v4, v4
	v_mul_lo_u32 v7, s20, v4
	v_mul_hi_u32 v7, v4, v7
	v_add_u32_e32 v4, v4, v7
	v_mul_hi_u32 v4, v5, v4
	v_mul_lo_u32 v7, v4, s18
	v_add_u32_e32 v8, 1, v4
	v_sub_u32_e32 v7, v5, v7
	v_subrev_u32_e32 v10, s18, v7
	v_cmp_le_u32_e32 vcc, s18, v7
	v_cndmask_b32_e32 v7, v7, v10, vcc
	v_cndmask_b32_e32 v4, v4, v8, vcc
	v_add_u32_e32 v8, 1, v4
	v_cmp_le_u32_e32 vcc, s18, v7
	v_cndmask_b32_e32 v7, v4, v8, vcc
	v_mov_b32_e32 v8, v3
.LBB0_6:                                ;   in Loop: Header=BB0_2 Depth=1
	s_or_b64 exec, exec, s[0:1]
	v_mul_lo_u32 v4, v8, s18
	v_mul_lo_u32 v12, v7, s19
	v_mad_u64_u32 v[10:11], s[0:1], v7, s18, 0
	s_load_dwordx2 s[0:1], s[6:7], 0x0
	s_add_u32 s16, s16, 1
	v_add3_u32 v4, v11, v12, v4
	v_sub_co_u32_e32 v5, vcc, v5, v10
	v_subb_co_u32_e32 v4, vcc, v6, v4, vcc
	s_waitcnt lgkmcnt(0)
	v_mul_lo_u32 v4, s0, v4
	v_mul_lo_u32 v6, s1, v5
	v_mad_u64_u32 v[1:2], s[0:1], s0, v5, v[1:2]
	s_addc_u32 s17, s17, 0
	s_add_u32 s6, s6, 8
	v_add3_u32 v2, v6, v2, v4
	v_mov_b32_e32 v4, s10
	v_mov_b32_e32 v5, s11
	s_addc_u32 s7, s7, 0
	v_cmp_ge_u64_e32 vcc, s[16:17], v[4:5]
	s_add_u32 s14, s14, 8
	s_addc_u32 s15, s15, 0
	s_cbranch_vccnz .LBB0_9
; %bb.7:                                ;   in Loop: Header=BB0_2 Depth=1
	v_mov_b32_e32 v5, v7
	v_mov_b32_e32 v6, v8
	s_branch .LBB0_2
.LBB0_8:
	v_mov_b32_e32 v8, v6
	v_mov_b32_e32 v7, v5
.LBB0_9:
	s_lshl_b64 s[0:1], s[10:11], 3
	s_add_u32 s0, s2, s0
	s_addc_u32 s1, s3, s1
	s_load_dwordx2 s[2:3], s[0:1], 0x0
	s_load_dwordx2 s[6:7], s[4:5], 0x20
	v_and_b32_e32 v5, 1, v9
	v_cmp_eq_u32_e32 vcc, 1, v5
                                        ; implicit-def: $vgpr13
                                        ; implicit-def: $vgpr19
                                        ; implicit-def: $vgpr17
                                        ; implicit-def: $vgpr15
                                        ; implicit-def: $vgpr12
	s_waitcnt lgkmcnt(0)
	v_mul_lo_u32 v3, s2, v8
	v_mul_lo_u32 v4, s3, v7
	v_mad_u64_u32 v[1:2], s[0:1], s2, v7, v[1:2]
	s_mov_b32 s0, 0x2e8ba2f
	v_cmp_le_u64_e64 s[2:3], s[6:7], v[7:8]
	v_add3_u32 v2, v4, v2, v3
	v_mul_hi_u32 v4, v0, s0
	v_cmp_gt_u64_e64 s[0:1], s[6:7], v[7:8]
	v_mov_b32_e32 v3, 0x3c9
	v_mul_u32_u24_e32 v4, 0x58, v4
	v_sub_u32_e32 v8, v0, v4
	s_and_saveexec_b64 s[4:5], s[2:3]
	s_xor_b64 s[2:3], exec, s[4:5]
; %bb.10:
	v_add_u32_e32 v13, 0x58, v8
	v_add_u32_e32 v19, 0xb0, v8
	;; [unrolled: 1-line block ×5, first 2 shown]
; %bb.11:
	s_or_saveexec_b64 s[2:3], s[2:3]
	v_cndmask_b32_e32 v0, 0, v3, vcc
	v_lshlrev_b64 v[10:11], 3, v[1:2]
	v_lshlrev_b32_e32 v16, 3, v0
	v_lshlrev_b32_e32 v14, 3, v8
	s_xor_b64 exec, exec, s[2:3]
	s_cbranch_execz .LBB0_13
; %bb.12:
	v_mov_b32_e32 v9, 0
	v_mov_b32_e32 v0, s13
	v_add_co_u32_e32 v2, vcc, s12, v10
	v_addc_co_u32_e32 v3, vcc, v0, v11, vcc
	v_lshlrev_b64 v[0:1], 3, v[8:9]
	v_add_u32_e32 v19, 0xb0, v8
	v_add_co_u32_e32 v0, vcc, v2, v0
	v_addc_co_u32_e32 v1, vcc, v3, v1, vcc
	v_add_co_u32_e32 v12, vcc, 0x1000, v0
	global_load_dwordx2 v[2:3], v[0:1], off
	global_load_dwordx2 v[4:5], v[0:1], off offset:704
	global_load_dwordx2 v[6:7], v[0:1], off offset:1408
	;; [unrolled: 1-line block ×3, first 2 shown]
	v_addc_co_u32_e32 v13, vcc, 0, v1, vcc
	global_load_dwordx2 v[22:23], v[0:1], off offset:2816
	global_load_dwordx2 v[24:25], v[0:1], off offset:3520
	;; [unrolled: 1-line block ×7, first 2 shown]
	v_add3_u32 v0, 0, v16, v14
	v_add_u32_e32 v13, 0x58, v8
	v_add_u32_e32 v17, 0x108, v8
	;; [unrolled: 1-line block ×8, first 2 shown]
	s_waitcnt vmcnt(9)
	ds_write2_b64 v0, v[2:3], v[4:5] offset1:88
	s_waitcnt vmcnt(7)
	ds_write2_b64 v1, v[6:7], v[20:21] offset0:48 offset1:136
	s_waitcnt vmcnt(5)
	ds_write2_b64 v9, v[22:23], v[24:25] offset0:96 offset1:184
	;; [unrolled: 2-line block ×4, first 2 shown]
	s_waitcnt vmcnt(0)
	ds_write_b64 v0, v[34:35] offset:7040
.LBB0_13:
	s_or_b64 exec, exec, s[2:3]
	v_add3_u32 v9, 0, v14, v16
	v_add_u32_e32 v39, 0, v16
	v_add_u32_e32 v2, 0x800, v9
	s_waitcnt lgkmcnt(0)
	s_barrier
	v_add_u32_e32 v38, v39, v14
	ds_read2_b64 v[20:23], v2 offset0:184 offset1:228
	ds_read_b64 v[0:1], v38
	ds_read_b64 v[34:35], v9 offset:7392
	v_cmp_gt_u32_e32 vcc, 44, v8
	s_waitcnt lgkmcnt(1)
	v_sub_f32_e32 v36, v0, v22
	v_sub_f32_e32 v37, v1, v23
	v_fma_f32 v40, v0, 2.0, -v36
	v_fma_f32 v41, v1, 2.0, -v37
	v_add_u32_e32 v0, 0x1000, v9
	v_add_u32_e32 v1, 0x1400, v9
	ds_read2_b64 v[3:6], v2 offset0:8 offset1:96
	ds_read2_b64 v[22:25], v1 offset0:108 offset1:196
	;; [unrolled: 1-line block ×4, first 2 shown]
	v_add_u32_e32 v1, v9, v14
	s_waitcnt lgkmcnt(0)
	s_barrier
	ds_write2_b64 v1, v[40:41], v[36:37] offset1:1
	v_sub_f32_e32 v30, v26, v30
	v_sub_f32_e32 v31, v27, v31
	v_lshl_add_u32 v1, v13, 4, 0
	v_fma_f32 v26, v26, 2.0, -v30
	v_fma_f32 v27, v27, 2.0, -v31
	v_add_u32_e32 v2, v1, v16
	ds_write2_b64 v2, v[26:27], v[30:31] offset1:1
	v_sub_f32_e32 v26, v28, v32
	v_sub_f32_e32 v27, v29, v33
	v_lshl_add_u32 v2, v19, 4, 0
	v_fma_f32 v28, v28, 2.0, -v26
	v_fma_f32 v29, v29, 2.0, -v27
	v_add_u32_e32 v7, v2, v16
	v_sub_f32_e32 v22, v3, v22
	ds_write2_b64 v7, v[28:29], v[26:27] offset1:1
	v_sub_f32_e32 v23, v4, v23
	v_fma_f32 v26, v3, 2.0, -v22
	v_lshl_add_u32 v3, v17, 4, 0
	v_fma_f32 v27, v4, 2.0, -v23
	v_add_u32_e32 v4, v3, v16
	ds_write2_b64 v4, v[26:27], v[22:23] offset1:1
	v_sub_f32_e32 v22, v5, v24
	v_sub_f32_e32 v23, v6, v25
	v_lshl_add_u32 v4, v15, 4, 0
	v_sub_f32_e32 v30, v20, v34
	v_sub_f32_e32 v31, v21, v35
	v_fma_f32 v5, v5, 2.0, -v22
	v_fma_f32 v6, v6, 2.0, -v23
	v_add_u32_e32 v7, v4, v16
	v_fma_f32 v20, v20, 2.0, -v30
	v_fma_f32 v21, v21, 2.0, -v31
	ds_write2_b64 v7, v[5:6], v[22:23] offset1:1
	s_and_saveexec_b64 s[2:3], vcc
	s_cbranch_execz .LBB0_15
; %bb.14:
	v_lshlrev_b32_e32 v5, 4, v12
	v_add3_u32 v5, 0, v5, v16
	ds_write2_b64 v5, v[20:21], v[30:31] offset1:1
.LBB0_15:
	s_or_b64 exec, exec, s[2:3]
	v_lshlrev_b32_e32 v6, 3, v13
	v_sub_u32_e32 v1, v1, v6
	v_add_u32_e32 v18, v1, v16
	v_lshlrev_b32_e32 v1, 3, v19
	v_sub_u32_e32 v1, v2, v1
	v_add_u32_e32 v40, v1, v16
	;; [unrolled: 3-line block ×3, first 2 shown]
	v_lshlrev_b32_e32 v1, 3, v15
	v_add_u32_e32 v5, 0xc00, v9
	v_sub_u32_e32 v1, v4, v1
	s_waitcnt lgkmcnt(0)
	s_barrier
	ds_read_b64 v[34:35], v38
	v_add_u32_e32 v42, v1, v16
	ds_read_b64 v[24:25], v41
	ds_read_b64 v[22:23], v42
	;; [unrolled: 1-line block ×4, first 2 shown]
	ds_read_b64 v[32:33], v9 offset:6688
	ds_read2_b64 v[4:7], v5 offset0:100 offset1:188
	ds_read2_b64 v[0:3], v0 offset0:148 offset1:236
	v_lshlrev_b32_e32 v44, 1, v13
	v_lshlrev_b32_e32 v47, 1, v19
	;; [unrolled: 1-line block ×5, first 2 shown]
	s_and_saveexec_b64 s[2:3], vcc
	s_cbranch_execz .LBB0_17
; %bb.16:
	v_add3_u32 v20, 0, v43, v16
	ds_read_b64 v[20:21], v20
	ds_read_b64 v[30:31], v9 offset:7392
.LBB0_17:
	s_or_b64 exec, exec, s[2:3]
	v_and_b32_e32 v36, 1, v8
	v_lshlrev_b32_e32 v37, 3, v36
	global_load_dwordx2 v[49:50], v37, s[8:9]
	s_movk_i32 s2, 0xfc
	s_waitcnt vmcnt(0) lgkmcnt(0)
	s_barrier
	s_movk_i32 s4, 0x3fc
	v_mul_f32_e32 v48, v50, v4
	v_mul_f32_e32 v37, v50, v5
	v_fmac_f32_e32 v48, v49, v5
	v_fma_f32 v37, v49, v4, -v37
	v_sub_f32_e32 v5, v35, v48
	v_lshlrev_b32_e32 v48, 1, v8
	v_sub_f32_e32 v4, v34, v37
	v_and_or_b32 v37, v48, s2, v36
	v_lshlrev_b32_e32 v37, 3, v37
	v_fma_f32 v34, v34, 2.0, -v4
	v_fma_f32 v35, v35, 2.0, -v5
	v_add3_u32 v37, 0, v37, v16
	ds_write2_b64 v37, v[34:35], v[4:5] offset1:2
	v_mul_f32_e32 v4, v50, v7
	v_mul_f32_e32 v5, v50, v6
	v_mul_f32_e32 v34, v50, v3
	s_movk_i32 s2, 0x1fc
	v_fma_f32 v4, v49, v6, -v4
	v_fmac_f32_e32 v5, v49, v7
	v_mul_f32_e32 v6, v50, v1
	v_mul_f32_e32 v7, v50, v0
	;; [unrolled: 1-line block ×3, first 2 shown]
	v_fma_f32 v34, v49, v2, -v34
	v_mul_f32_e32 v2, v50, v33
	v_fma_f32 v6, v49, v0, -v6
	v_fmac_f32_e32 v7, v49, v1
	v_and_or_b32 v0, v44, s2, v36
	v_and_or_b32 v1, v47, s4, v36
	v_mul_f32_e32 v37, v50, v32
	v_fma_f32 v32, v49, v32, -v2
	v_mul_f32_e32 v2, v31, v50
	v_fmac_f32_e32 v35, v49, v3
	v_fmac_f32_e32 v37, v49, v33
	v_mul_f32_e32 v33, v30, v50
	v_fma_f32 v30, v30, v49, -v2
	v_and_or_b32 v2, v46, s4, v36
	v_and_or_b32 v3, v45, s4, v36
	v_lshlrev_b32_e32 v0, 3, v0
	v_lshlrev_b32_e32 v1, 3, v1
	v_fmac_f32_e32 v33, v31, v49
	v_lshlrev_b32_e32 v2, 3, v2
	v_lshlrev_b32_e32 v3, 3, v3
	v_add3_u32 v49, 0, v0, v16
	v_add3_u32 v50, 0, v1, v16
	v_sub_f32_e32 v0, v28, v4
	v_sub_f32_e32 v1, v29, v5
	v_add3_u32 v51, 0, v2, v16
	v_add3_u32 v52, 0, v3, v16
	v_sub_f32_e32 v2, v26, v6
	v_sub_f32_e32 v3, v27, v7
	;; [unrolled: 1-line block ×8, first 2 shown]
	v_fma_f32 v28, v28, 2.0, -v0
	v_fma_f32 v29, v29, 2.0, -v1
	;; [unrolled: 1-line block ×10, first 2 shown]
	ds_write2_b64 v49, v[28:29], v[0:1] offset1:2
	ds_write2_b64 v50, v[26:27], v[2:3] offset1:2
	;; [unrolled: 1-line block ×4, first 2 shown]
	v_lshlrev_b32_e32 v49, 1, v12
	s_and_saveexec_b64 s[2:3], vcc
	s_cbranch_execz .LBB0_19
; %bb.18:
	v_and_or_b32 v0, v49, s4, v36
	v_lshlrev_b32_e32 v0, 3, v0
	v_add3_u32 v0, 0, v0, v16
	ds_write2_b64 v0, v[20:21], v[30:31] offset1:2
.LBB0_19:
	s_or_b64 exec, exec, s[2:3]
	v_add_u32_e32 v0, 0xc00, v9
	v_add_u32_e32 v4, 0x1000, v9
	s_waitcnt lgkmcnt(0)
	s_barrier
	ds_read_b64 v[22:23], v38
	ds_read2_b64 v[0:3], v0 offset0:100 offset1:188
	ds_read_b64 v[24:25], v40
	ds_read2_b64 v[4:7], v4 offset0:148 offset1:236
	ds_read_b64 v[28:29], v41
	ds_read_b64 v[26:27], v42
	;; [unrolled: 1-line block ×3, first 2 shown]
	ds_read_b64 v[36:37], v9 offset:6688
	s_and_saveexec_b64 s[2:3], vcc
	s_cbranch_execz .LBB0_21
; %bb.20:
	v_add3_u32 v20, 0, v43, v16
	ds_read_b64 v[20:21], v20
	ds_read_b64 v[30:31], v9 offset:7392
.LBB0_21:
	s_or_b64 exec, exec, s[2:3]
	v_and_b32_e32 v50, 3, v8
	v_lshlrev_b32_e32 v34, 3, v50
	global_load_dwordx2 v[34:35], v34, s[8:9] offset:16
	s_movk_i32 s2, 0xf8
	s_movk_i32 s3, 0x1f8
	s_movk_i32 s4, 0x3f8
	v_and_or_b32 v48, v48, s2, v50
	v_and_or_b32 v44, v44, s3, v50
	;; [unrolled: 1-line block ×5, first 2 shown]
	v_lshlrev_b32_e32 v48, 3, v48
	v_lshlrev_b32_e32 v44, 3, v44
	;; [unrolled: 1-line block ×5, first 2 shown]
	v_add3_u32 v48, 0, v48, v16
	s_waitcnt vmcnt(0) lgkmcnt(0)
	s_barrier
	v_add3_u32 v44, 0, v44, v16
	v_add3_u32 v47, 0, v47, v16
	;; [unrolled: 1-line block ×4, first 2 shown]
	v_mul_f32_e32 v51, v35, v1
	v_mul_f32_e32 v52, v35, v0
	;; [unrolled: 1-line block ×10, first 2 shown]
	v_fma_f32 v0, v34, v0, -v51
	v_fmac_f32_e32 v52, v34, v1
	v_fma_f32 v2, v34, v2, -v53
	v_fmac_f32_e32 v54, v34, v3
	;; [unrolled: 2-line block ×5, first 2 shown]
	v_sub_f32_e32 v0, v22, v0
	v_sub_f32_e32 v1, v23, v52
	;; [unrolled: 1-line block ×10, first 2 shown]
	v_fma_f32 v22, v22, 2.0, -v0
	v_fma_f32 v23, v23, 2.0, -v1
	;; [unrolled: 1-line block ×10, first 2 shown]
	ds_write2_b64 v48, v[22:23], v[0:1] offset1:4
	ds_write2_b64 v44, v[32:33], v[2:3] offset1:4
	;; [unrolled: 1-line block ×5, first 2 shown]
	s_and_saveexec_b64 s[2:3], vcc
	s_cbranch_execz .LBB0_23
; %bb.22:
	v_mul_f32_e32 v0, v30, v35
	v_fmac_f32_e32 v0, v31, v34
	v_sub_f32_e32 v1, v21, v0
	v_mul_f32_e32 v0, v31, v35
	v_fma_f32 v0, v30, v34, -v0
	v_and_or_b32 v4, v49, s4, v50
	v_sub_f32_e32 v0, v20, v0
	v_lshlrev_b32_e32 v4, 3, v4
	v_fma_f32 v3, v21, 2.0, -v1
	v_fma_f32 v2, v20, 2.0, -v0
	v_add3_u32 v4, 0, v4, v16
	ds_write2_b64 v4, v[2:3], v[0:1] offset1:4
.LBB0_23:
	s_or_b64 exec, exec, s[2:3]
	v_and_b32_e32 v5, 7, v8
	v_mul_u32_u24_e32 v20, 10, v5
	v_add3_u32 v4, 0, v43, v16
	v_add_u32_e32 v3, 0x1000, v9
	v_add_u32_e32 v2, 0x1400, v9
	v_lshlrev_b32_e32 v59, 3, v20
	s_waitcnt lgkmcnt(0)
	s_barrier
	ds_read_b64 v[36:37], v38
	ds_read_b64 v[0:1], v18
	ds_read_b64 v[6:7], v40
	ds_read_b64 v[51:52], v41
	ds_read_b64 v[53:54], v42
	ds_read2_b32 v[55:56], v4 offset1:1
	ds_read2_b64 v[24:27], v3 offset0:16 offset1:104
	ds_read2_b64 v[28:31], v2 offset0:64 offset1:152
	ds_read_b64 v[57:58], v9 offset:7040
	global_load_dwordx4 v[32:35], v59, s[8:9] offset:96
	global_load_dwordx4 v[43:46], v59, s[8:9] offset:80
	;; [unrolled: 1-line block ×4, first 2 shown]
	s_mov_b32 s2, 0x3f575c64
	s_mov_b32 s3, 0x3ed4b147
	;; [unrolled: 1-line block ×5, first 2 shown]
	s_waitcnt vmcnt(0) lgkmcnt(7)
	v_mul_f32_e32 v60, v21, v1
	v_fma_f32 v60, v20, v0, -v60
	v_mul_f32_e32 v61, v21, v0
	s_waitcnt lgkmcnt(6)
	v_mul_f32_e32 v0, v23, v7
	v_fma_f32 v62, v22, v6, -v0
	s_waitcnt lgkmcnt(5)
	v_mul_f32_e32 v0, v48, v52
	v_mul_f32_e32 v63, v23, v6
	v_fma_f32 v64, v47, v51, -v0
	s_waitcnt lgkmcnt(4)
	v_mul_f32_e32 v0, v50, v54
	v_fmac_f32_e32 v63, v22, v7
	v_fma_f32 v22, v49, v53, -v0
	s_waitcnt lgkmcnt(3)
	v_mul_f32_e32 v0, v56, v44
	v_fma_f32 v6, v43, v55, -v0
	s_waitcnt lgkmcnt(2)
	v_mul_f32_e32 v0, v25, v46
	v_fmac_f32_e32 v61, v20, v1
	v_fma_f32 v20, v24, v45, -v0
	v_mul_f32_e32 v21, v24, v46
	v_mul_f32_e32 v0, v27, v33
	v_fmac_f32_e32 v21, v25, v45
	v_fma_f32 v24, v26, v32, -v0
	v_mul_f32_e32 v25, v26, v33
	s_waitcnt lgkmcnt(1)
	v_mul_f32_e32 v0, v29, v35
	v_mul_f32_e32 v33, v28, v35
	v_fmac_f32_e32 v25, v27, v32
	v_fma_f32 v32, v28, v34, -v0
	v_fmac_f32_e32 v33, v29, v34
	global_load_dwordx4 v[26:29], v59, s[8:9] offset:112
	v_mul_f32_e32 v48, v48, v51
	v_add_f32_e32 v1, v61, v37
	v_fmac_f32_e32 v48, v47, v52
	v_mul_f32_e32 v23, v50, v53
	v_add_f32_e32 v1, v1, v63
	v_fmac_f32_e32 v23, v49, v54
	v_mul_f32_e32 v7, v44, v55
	v_add_f32_e32 v1, v1, v48
	v_fmac_f32_e32 v7, v56, v43
	v_add_f32_e32 v1, v1, v23
	v_add_f32_e32 v1, v1, v7
	;; [unrolled: 1-line block ×5, first 2 shown]
	s_waitcnt vmcnt(0) lgkmcnt(0)
	s_barrier
	v_mul_f32_e32 v0, v31, v27
	v_fma_f32 v34, v30, v26, -v0
	v_mul_f32_e32 v27, v30, v27
	v_mul_f32_e32 v0, v58, v29
	v_fmac_f32_e32 v27, v31, v26
	v_fma_f32 v26, v57, v28, -v0
	v_add_f32_e32 v0, v60, v36
	v_add_f32_e32 v0, v0, v62
	;; [unrolled: 1-line block ×8, first 2 shown]
	v_mul_f32_e32 v29, v57, v29
	v_add_f32_e32 v0, v0, v34
	v_fmac_f32_e32 v29, v58, v28
	v_add_f32_e32 v1, v1, v27
	v_add_f32_e32 v0, v0, v26
	;; [unrolled: 1-line block ×3, first 2 shown]
	v_sub_f32_e32 v26, v60, v26
	v_add_f32_e32 v1, v1, v29
	v_add_f32_e32 v30, v61, v29
	v_sub_f32_e32 v29, v61, v29
	v_mul_f32_e32 v43, 0xbf0a6770, v26
	v_mul_f32_e32 v47, 0xbf68dda4, v26
	;; [unrolled: 1-line block ×6, first 2 shown]
	v_mov_b32_e32 v44, v43
	v_mul_f32_e32 v45, 0xbf68dda4, v29
	v_mov_b32_e32 v49, v47
	v_mul_f32_e32 v50, 0xbf7d64f0, v29
	;; [unrolled: 2-line block ×4, first 2 shown]
	v_mov_b32_e32 v59, v26
	v_fma_f32 v35, v28, s2, -v31
	v_fmac_f32_e32 v44, 0x3f575c64, v30
	v_fmac_f32_e32 v31, 0x3f575c64, v28
	v_fma_f32 v43, v30, s2, -v43
	v_fma_f32 v46, v28, s3, -v45
	v_fmac_f32_e32 v49, 0x3ed4b147, v30
	v_fmac_f32_e32 v45, 0x3ed4b147, v28
	v_fma_f32 v47, v30, s3, -v47
	;; [unrolled: 4-line block ×5, first 2 shown]
	v_add_f32_e32 v30, v63, v27
	v_sub_f32_e32 v27, v63, v27
	v_add_f32_e32 v35, v35, v36
	v_add_f32_e32 v31, v31, v36
	;; [unrolled: 1-line block ×11, first 2 shown]
	v_mul_f32_e32 v36, 0xbf68dda4, v27
	v_add_f32_e32 v44, v44, v37
	v_add_f32_e32 v43, v43, v37
	;; [unrolled: 1-line block ×10, first 2 shown]
	v_sub_f32_e32 v34, v62, v34
	v_fma_f32 v37, v29, s3, -v36
	v_add_f32_e32 v35, v37, v35
	v_mul_f32_e32 v37, 0xbf68dda4, v34
	v_fmac_f32_e32 v36, 0x3ed4b147, v29
	v_mov_b32_e32 v60, v37
	v_add_f32_e32 v31, v36, v31
	v_fma_f32 v36, v30, s3, -v37
	v_mul_f32_e32 v37, 0xbf4178ce, v27
	v_add_f32_e32 v36, v36, v43
	v_fma_f32 v43, v29, s5, -v37
	v_fmac_f32_e32 v60, 0x3ed4b147, v30
	v_add_f32_e32 v43, v43, v46
	v_mul_f32_e32 v46, 0xbf4178ce, v34
	v_fmac_f32_e32 v37, 0xbf27a4f4, v29
	v_add_f32_e32 v44, v60, v44
	v_mov_b32_e32 v60, v46
	v_add_f32_e32 v37, v37, v45
	v_fma_f32 v45, v30, s5, -v46
	v_mul_f32_e32 v46, 0x3e903f40, v27
	v_add_f32_e32 v45, v45, v47
	v_fma_f32 v47, v29, s6, -v46
	v_fmac_f32_e32 v60, 0xbf27a4f4, v30
	v_add_f32_e32 v47, v47, v51
	v_mul_f32_e32 v51, 0x3e903f40, v34
	v_fmac_f32_e32 v46, 0xbf75a155, v29
	v_add_f32_e32 v49, v60, v49
	v_mov_b32_e32 v60, v51
	v_add_f32_e32 v46, v46, v50
	v_fma_f32 v50, v30, s6, -v51
	v_mul_f32_e32 v51, 0x3f7d64f0, v27
	v_add_f32_e32 v50, v50, v52
	v_fma_f32 v52, v29, s4, -v51
	v_fmac_f32_e32 v60, 0xbf75a155, v30
	v_add_f32_e32 v52, v52, v55
	v_mul_f32_e32 v55, 0x3f7d64f0, v34
	v_fmac_f32_e32 v51, 0xbe11bafb, v29
	v_mul_f32_e32 v27, 0x3f0a6770, v27
	v_add_f32_e32 v53, v60, v53
	v_mov_b32_e32 v60, v55
	v_add_f32_e32 v51, v51, v54
	v_fma_f32 v54, v30, s4, -v55
	v_fma_f32 v55, v29, s2, -v27
	v_mul_f32_e32 v34, 0x3f0a6770, v34
	v_fmac_f32_e32 v27, 0x3f575c64, v29
	v_add_f32_e32 v54, v54, v56
	v_mov_b32_e32 v56, v34
	v_add_f32_e32 v27, v27, v28
	v_fma_f32 v28, v30, s2, -v34
	v_fmac_f32_e32 v60, 0xbe11bafb, v30
	v_fmac_f32_e32 v56, 0x3f575c64, v30
	v_add_f32_e32 v26, v28, v26
	v_add_f32_e32 v28, v64, v32
	v_sub_f32_e32 v30, v64, v32
	v_sub_f32_e32 v32, v48, v33
	v_add_f32_e32 v29, v48, v33
	v_mul_f32_e32 v33, 0xbf7d64f0, v32
	v_fma_f32 v34, v28, s4, -v33
	v_add_f32_e32 v34, v34, v35
	v_mul_f32_e32 v35, 0xbf7d64f0, v30
	v_fmac_f32_e32 v33, 0xbe11bafb, v28
	v_mov_b32_e32 v48, v35
	v_add_f32_e32 v31, v33, v31
	v_fma_f32 v33, v29, s4, -v35
	v_mul_f32_e32 v35, 0x3e903f40, v32
	v_add_f32_e32 v33, v33, v36
	v_fma_f32 v36, v28, s6, -v35
	v_fmac_f32_e32 v48, 0xbe11bafb, v29
	v_add_f32_e32 v36, v36, v43
	v_mul_f32_e32 v43, 0x3e903f40, v30
	v_fmac_f32_e32 v35, 0xbf75a155, v28
	v_add_f32_e32 v44, v48, v44
	v_mov_b32_e32 v48, v43
	v_add_f32_e32 v35, v35, v37
	v_fma_f32 v37, v29, s6, -v43
	v_mul_f32_e32 v43, 0x3f68dda4, v32
	v_add_f32_e32 v37, v37, v45
	v_fma_f32 v45, v28, s3, -v43
	v_fmac_f32_e32 v48, 0xbf75a155, v29
	v_add_f32_e32 v45, v45, v47
	v_mul_f32_e32 v47, 0x3f68dda4, v30
	v_fmac_f32_e32 v43, 0x3ed4b147, v28
	v_add_f32_e32 v48, v48, v49
	v_mov_b32_e32 v49, v47
	v_add_f32_e32 v43, v43, v46
	v_fma_f32 v46, v29, s3, -v47
	v_mul_f32_e32 v47, 0xbf0a6770, v32
	v_add_f32_e32 v46, v46, v50
	v_fma_f32 v50, v28, s2, -v47
	v_add_f32_e32 v50, v50, v52
	v_mul_f32_e32 v52, 0xbf0a6770, v30
	v_fmac_f32_e32 v47, 0x3f575c64, v28
	v_fmac_f32_e32 v49, 0x3ed4b147, v29
	v_add_f32_e32 v47, v47, v51
	v_fma_f32 v51, v29, s2, -v52
	v_mul_f32_e32 v30, 0xbf4178ce, v30
	v_add_f32_e32 v49, v49, v53
	v_mov_b32_e32 v53, v52
	v_add_f32_e32 v51, v51, v54
	v_mul_f32_e32 v32, 0xbf4178ce, v32
	v_mov_b32_e32 v54, v30
	v_fmac_f32_e32 v53, 0x3f575c64, v29
	v_fma_f32 v52, v28, s5, -v32
	v_fmac_f32_e32 v54, 0xbf27a4f4, v29
	v_fmac_f32_e32 v32, 0xbf27a4f4, v28
	v_fma_f32 v28, v29, s5, -v30
	v_add_f32_e32 v29, v23, v25
	v_sub_f32_e32 v23, v23, v25
	v_add_f32_e32 v26, v28, v26
	v_add_f32_e32 v28, v22, v24
	v_sub_f32_e32 v22, v22, v24
	v_mul_f32_e32 v24, 0xbf4178ce, v23
	v_fma_f32 v25, v28, s5, -v24
	v_mul_f32_e32 v30, 0xbf4178ce, v22
	v_fmac_f32_e32 v24, 0xbf27a4f4, v28
	v_add_f32_e32 v27, v32, v27
	v_mov_b32_e32 v32, v30
	v_add_f32_e32 v24, v24, v31
	v_fma_f32 v30, v29, s5, -v30
	v_mul_f32_e32 v31, 0x3f7d64f0, v23
	v_add_f32_e32 v25, v25, v34
	v_add_f32_e32 v30, v30, v33
	v_fma_f32 v33, v28, s4, -v31
	v_mul_f32_e32 v34, 0x3f7d64f0, v22
	v_fmac_f32_e32 v31, 0xbe11bafb, v28
	v_fmac_f32_e32 v32, 0xbf27a4f4, v29
	v_add_f32_e32 v33, v33, v36
	v_mov_b32_e32 v36, v34
	v_add_f32_e32 v31, v31, v35
	v_fma_f32 v34, v29, s4, -v34
	v_mul_f32_e32 v35, 0xbf0a6770, v23
	v_add_f32_e32 v32, v32, v44
	v_add_f32_e32 v34, v34, v37
	v_fma_f32 v37, v28, s2, -v35
	v_mul_f32_e32 v44, 0xbf0a6770, v22
	v_fmac_f32_e32 v35, 0x3f575c64, v28
	v_fmac_f32_e32 v36, 0xbe11bafb, v29
	v_add_f32_e32 v37, v37, v45
	v_mov_b32_e32 v45, v44
	v_add_f32_e32 v35, v35, v43
	v_fma_f32 v43, v29, s2, -v44
	v_mul_f32_e32 v44, 0xbe903f40, v23
	v_add_f32_e32 v36, v36, v48
	v_fmac_f32_e32 v45, 0x3f575c64, v29
	v_add_f32_e32 v43, v43, v46
	v_fma_f32 v46, v28, s6, -v44
	v_mul_f32_e32 v48, 0xbe903f40, v22
	v_mul_f32_e32 v22, 0x3f68dda4, v22
	v_add_f32_e32 v57, v60, v57
	v_add_f32_e32 v55, v55, v58
	;; [unrolled: 1-line block ×5, first 2 shown]
	v_mov_b32_e32 v49, v48
	v_mov_b32_e32 v50, v22
	v_add_f32_e32 v53, v53, v57
	v_add_f32_e32 v52, v52, v55
	;; [unrolled: 1-line block ×3, first 2 shown]
	v_fmac_f32_e32 v49, 0xbf75a155, v29
	v_fmac_f32_e32 v44, 0xbf75a155, v28
	v_mul_f32_e32 v23, 0x3f68dda4, v23
	v_fmac_f32_e32 v50, 0x3ed4b147, v29
	v_sub_f32_e32 v55, v6, v20
	v_sub_f32_e32 v56, v7, v21
	v_add_f32_e32 v49, v49, v53
	v_add_f32_e32 v44, v44, v47
	v_fma_f32 v47, v29, s6, -v48
	v_fma_f32 v48, v28, s3, -v23
	v_add_f32_e32 v50, v50, v54
	v_fmac_f32_e32 v23, 0x3ed4b147, v28
	v_fma_f32 v22, v29, s3, -v22
	v_add_f32_e32 v53, v6, v20
	v_add_f32_e32 v54, v7, v21
	v_mul_f32_e32 v20, 0xbe903f40, v56
	v_mul_f32_e32 v29, 0xbf4178ce, v55
	v_add_f32_e32 v47, v47, v51
	v_add_f32_e32 v51, v23, v27
	v_fma_f32 v6, v53, s6, -v20
	v_fmac_f32_e32 v20, 0xbf75a155, v53
	v_mov_b32_e32 v27, v29
	v_fma_f32 v29, v54, s5, -v29
	v_add_f32_e32 v6, v6, v25
	v_mul_f32_e32 v21, 0xbe903f40, v55
	v_add_f32_e32 v20, v20, v24
	v_mul_f32_e32 v24, 0x3f0a6770, v56
	v_mul_f32_e32 v25, 0x3f0a6770, v55
	v_mul_f32_e32 v28, 0xbf4178ce, v56
	v_add_f32_e32 v29, v29, v43
	v_lshrrev_b32_e32 v43, 3, v8
	v_add_f32_e32 v48, v48, v52
	v_add_f32_e32 v52, v22, v26
	v_mov_b32_e32 v7, v21
	v_fma_f32 v22, v53, s2, -v24
	v_mov_b32_e32 v23, v25
	v_fma_f32 v26, v53, s5, -v28
	v_mul_u32_u24_e32 v43, 0x58, v43
	v_fmac_f32_e32 v7, 0xbf75a155, v54
	v_add_f32_e32 v22, v22, v33
	v_fmac_f32_e32 v23, 0x3f575c64, v54
	v_fmac_f32_e32 v24, 0x3f575c64, v53
	v_add_f32_e32 v26, v26, v37
	v_fmac_f32_e32 v28, 0xbf27a4f4, v53
	v_mul_f32_e32 v33, 0x3f68dda4, v55
	v_mul_f32_e32 v37, 0xbf7d64f0, v55
	v_or_b32_e32 v5, v43, v5
	v_add_f32_e32 v7, v7, v32
	v_fma_f32 v21, v54, s6, -v21
	v_add_f32_e32 v23, v23, v36
	v_add_f32_e32 v24, v24, v31
	v_fma_f32 v25, v54, s2, -v25
	v_add_f32_e32 v28, v28, v35
	v_mul_f32_e32 v32, 0x3f68dda4, v56
	v_mov_b32_e32 v31, v33
	v_mul_f32_e32 v36, 0xbf7d64f0, v56
	v_mov_b32_e32 v35, v37
	v_lshlrev_b32_e32 v5, 3, v5
	v_add_f32_e32 v21, v21, v30
	v_add_f32_e32 v25, v25, v34
	v_fmac_f32_e32 v27, 0xbf27a4f4, v54
	v_fma_f32 v30, v53, s3, -v32
	v_fmac_f32_e32 v31, 0x3ed4b147, v54
	v_fmac_f32_e32 v32, 0x3ed4b147, v53
	v_fma_f32 v33, v54, s3, -v33
	v_fma_f32 v34, v53, s4, -v36
	v_fmac_f32_e32 v35, 0xbe11bafb, v54
	v_fmac_f32_e32 v36, 0xbe11bafb, v53
	v_fma_f32 v37, v54, s4, -v37
	v_add3_u32 v5, 0, v5, v16
	v_mul_u32_u24_e32 v16, 10, v8
	v_add_f32_e32 v27, v27, v45
	v_add_f32_e32 v30, v30, v46
	;; [unrolled: 1-line block ×9, first 2 shown]
	v_lshlrev_b32_e32 v16, 3, v16
	ds_write2_b64 v5, v[0:1], v[6:7] offset1:8
	ds_write2_b64 v5, v[22:23], v[26:27] offset0:16 offset1:24
	ds_write2_b64 v5, v[30:31], v[34:35] offset0:32 offset1:40
	;; [unrolled: 1-line block ×4, first 2 shown]
	ds_write_b64 v5, v[20:21] offset:640
	s_waitcnt lgkmcnt(0)
	s_barrier
	ds_read_b64 v[0:1], v38
	ds_read_b64 v[36:37], v18
	;; [unrolled: 1-line block ×6, first 2 shown]
	ds_read2_b64 v[4:7], v3 offset0:16 offset1:104
	ds_read2_b64 v[20:23], v2 offset0:64 offset1:152
	ds_read_b64 v[52:53], v9 offset:7040
	global_load_dwordx4 v[24:27], v16, s[8:9] offset:736
	global_load_dwordx4 v[28:31], v16, s[8:9] offset:720
	;; [unrolled: 1-line block ×4, first 2 shown]
	s_waitcnt vmcnt(0) lgkmcnt(7)
	v_mul_f32_e32 v18, v41, v37
	v_fma_f32 v18, v40, v36, -v18
	v_mul_f32_e32 v36, v41, v36
	s_waitcnt lgkmcnt(5)
	v_mul_f32_e32 v41, v33, v47
	v_mul_f32_e32 v33, v33, v46
	v_fma_f32 v41, v32, v46, -v41
	v_fmac_f32_e32 v33, v32, v47
	s_waitcnt lgkmcnt(4)
	v_mul_f32_e32 v32, v35, v49
	v_mul_f32_e32 v35, v35, v48
	v_fma_f32 v32, v34, v48, -v32
	v_fmac_f32_e32 v35, v34, v49
	;; [unrolled: 5-line block ×3, first 2 shown]
	s_waitcnt lgkmcnt(2)
	v_mul_f32_e32 v28, v5, v31
	v_fma_f32 v28, v4, v30, -v28
	v_mul_f32_e32 v31, v4, v31
	v_mul_f32_e32 v4, v7, v25
	v_fmac_f32_e32 v31, v5, v30
	v_fma_f32 v30, v6, v24, -v4
	v_mul_f32_e32 v25, v6, v25
	s_waitcnt lgkmcnt(1)
	v_mul_f32_e32 v4, v21, v27
	v_fmac_f32_e32 v25, v7, v24
	v_fma_f32 v24, v20, v26, -v4
	global_load_dwordx4 v[4:7], v16, s[8:9] offset:752
	v_mul_f32_e32 v20, v20, v27
	v_fmac_f32_e32 v36, v40, v37
	v_mul_f32_e32 v40, v43, v44
	v_fmac_f32_e32 v20, v21, v26
	;; [unrolled: 2-line block ×3, first 2 shown]
	v_fma_f32 v37, v42, v44, -v37
	s_waitcnt vmcnt(0) lgkmcnt(0)
	s_barrier
	v_mul_f32_e32 v16, v23, v5
	v_mul_f32_e32 v21, v22, v5
	v_fma_f32 v16, v22, v4, -v16
	v_fmac_f32_e32 v21, v23, v4
	v_mul_f32_e32 v4, v53, v7
	v_add_f32_e32 v5, v36, v1
	v_fma_f32 v22, v52, v6, -v4
	v_add_f32_e32 v4, v18, v0
	v_add_f32_e32 v5, v5, v40
	;; [unrolled: 1-line block ×12, first 2 shown]
	v_mul_f32_e32 v7, v52, v7
	v_add_f32_e32 v4, v4, v30
	v_add_f32_e32 v5, v5, v20
	v_fmac_f32_e32 v7, v53, v6
	v_add_f32_e32 v4, v4, v24
	v_add_f32_e32 v5, v5, v21
	;; [unrolled: 1-line block ×3, first 2 shown]
	v_sub_f32_e32 v18, v18, v22
	v_add_f32_e32 v4, v4, v16
	v_add_f32_e32 v5, v5, v7
	;; [unrolled: 1-line block ×3, first 2 shown]
	v_sub_f32_e32 v7, v36, v7
	v_mul_f32_e32 v27, 0xbf0a6770, v18
	v_mul_f32_e32 v44, 0xbf68dda4, v18
	;; [unrolled: 1-line block ×5, first 2 shown]
	v_add_f32_e32 v4, v4, v22
	v_mul_f32_e32 v22, 0xbf0a6770, v7
	v_mov_b32_e32 v36, v27
	v_mul_f32_e32 v42, 0xbf68dda4, v7
	v_mov_b32_e32 v45, v44
	;; [unrolled: 2-line block ×5, first 2 shown]
	v_fma_f32 v26, v6, s2, -v22
	v_fmac_f32_e32 v36, 0x3f575c64, v23
	v_fmac_f32_e32 v22, 0x3f575c64, v6
	v_fma_f32 v27, v23, s2, -v27
	v_fma_f32 v43, v6, s3, -v42
	v_fmac_f32_e32 v45, 0x3ed4b147, v23
	v_fmac_f32_e32 v42, 0x3ed4b147, v6
	v_fma_f32 v44, v23, s3, -v44
	;; [unrolled: 4-line block ×5, first 2 shown]
	v_sub_f32_e32 v18, v40, v21
	v_add_f32_e32 v26, v26, v0
	v_add_f32_e32 v36, v36, v1
	;; [unrolled: 1-line block ×22, first 2 shown]
	v_mul_f32_e32 v21, 0xbf68dda4, v18
	v_sub_f32_e32 v16, v37, v16
	v_fma_f32 v23, v6, s3, -v21
	v_add_f32_e32 v23, v23, v26
	v_mul_f32_e32 v26, 0xbf68dda4, v16
	v_fmac_f32_e32 v21, 0x3ed4b147, v6
	v_mov_b32_e32 v37, v26
	v_add_f32_e32 v21, v21, v22
	v_fma_f32 v22, v7, s3, -v26
	v_mul_f32_e32 v26, 0xbf4178ce, v18
	v_fmac_f32_e32 v37, 0x3ed4b147, v7
	v_add_f32_e32 v22, v22, v27
	v_fma_f32 v27, v6, s5, -v26
	v_fmac_f32_e32 v26, 0xbf27a4f4, v6
	v_add_f32_e32 v36, v37, v36
	v_mul_f32_e32 v37, 0xbf4178ce, v16
	v_add_f32_e32 v26, v26, v42
	v_mul_f32_e32 v42, 0x3e903f40, v18
	v_add_f32_e32 v27, v27, v43
	v_mov_b32_e32 v40, v37
	v_fma_f32 v37, v7, s5, -v37
	v_fma_f32 v43, v6, s6, -v42
	v_fmac_f32_e32 v42, 0xbf75a155, v6
	v_fmac_f32_e32 v40, 0xbf27a4f4, v7
	v_add_f32_e32 v37, v37, v44
	v_mul_f32_e32 v44, 0x3e903f40, v16
	v_add_f32_e32 v42, v42, v46
	v_mul_f32_e32 v46, 0x3f7d64f0, v18
	v_add_f32_e32 v40, v40, v45
	v_add_f32_e32 v43, v43, v47
	v_mov_b32_e32 v45, v44
	v_fma_f32 v44, v7, s6, -v44
	v_fma_f32 v47, v6, s4, -v46
	v_fmac_f32_e32 v46, 0xbe11bafb, v6
	v_mul_f32_e32 v18, 0x3f0a6770, v18
	v_fmac_f32_e32 v45, 0xbf75a155, v7
	v_add_f32_e32 v44, v44, v48
	v_mul_f32_e32 v48, 0x3f7d64f0, v16
	v_add_f32_e32 v46, v46, v50
	v_fma_f32 v50, v6, s2, -v18
	v_mul_f32_e32 v16, 0x3f0a6770, v16
	v_fmac_f32_e32 v18, 0x3f575c64, v6
	v_add_f32_e32 v45, v45, v49
	v_add_f32_e32 v47, v47, v51
	v_mov_b32_e32 v49, v48
	v_mov_b32_e32 v51, v16
	v_add_f32_e32 v0, v18, v0
	v_fma_f32 v6, v7, s2, -v16
	v_sub_f32_e32 v18, v33, v20
	v_fmac_f32_e32 v49, 0xbe11bafb, v7
	v_fma_f32 v48, v7, s4, -v48
	v_fmac_f32_e32 v51, 0x3f575c64, v7
	v_add_f32_e32 v1, v6, v1
	v_add_f32_e32 v6, v41, v24
	;; [unrolled: 1-line block ×3, first 2 shown]
	v_mul_f32_e32 v20, 0xbf7d64f0, v18
	v_sub_f32_e32 v16, v41, v24
	v_fma_f32 v24, v6, s4, -v20
	v_add_f32_e32 v23, v24, v23
	v_mul_f32_e32 v24, 0xbf7d64f0, v16
	v_fmac_f32_e32 v20, 0xbe11bafb, v6
	v_add_f32_e32 v20, v20, v21
	v_fma_f32 v21, v7, s4, -v24
	v_add_f32_e32 v21, v21, v22
	v_mul_f32_e32 v22, 0x3e903f40, v18
	v_mov_b32_e32 v33, v24
	v_fma_f32 v24, v6, s6, -v22
	v_fmac_f32_e32 v33, 0xbe11bafb, v7
	v_add_f32_e32 v24, v24, v27
	v_mul_f32_e32 v27, 0x3e903f40, v16
	v_fmac_f32_e32 v22, 0xbf75a155, v6
	v_add_f32_e32 v33, v33, v36
	v_mov_b32_e32 v36, v27
	v_add_f32_e32 v22, v22, v26
	v_fma_f32 v26, v7, s6, -v27
	v_mul_f32_e32 v27, 0x3f68dda4, v18
	v_fmac_f32_e32 v36, 0xbf75a155, v7
	v_add_f32_e32 v26, v26, v37
	v_fma_f32 v37, v6, s3, -v27
	v_fmac_f32_e32 v27, 0x3ed4b147, v6
	v_add_f32_e32 v36, v36, v40
	v_mul_f32_e32 v40, 0x3f68dda4, v16
	v_add_f32_e32 v27, v27, v42
	v_mul_f32_e32 v42, 0xbf0a6770, v18
	v_add_f32_e32 v37, v37, v43
	v_mov_b32_e32 v41, v40
	v_fma_f32 v40, v7, s3, -v40
	v_fma_f32 v43, v6, s2, -v42
	v_fmac_f32_e32 v42, 0x3f575c64, v6
	v_mul_f32_e32 v18, 0xbf4178ce, v18
	v_fmac_f32_e32 v41, 0x3ed4b147, v7
	v_add_f32_e32 v40, v40, v44
	v_mul_f32_e32 v44, 0xbf0a6770, v16
	v_add_f32_e32 v42, v42, v46
	v_fma_f32 v46, v6, s5, -v18
	v_mul_f32_e32 v16, 0xbf4178ce, v16
	v_fmac_f32_e32 v18, 0xbf27a4f4, v6
	v_add_f32_e32 v41, v41, v45
	v_add_f32_e32 v43, v43, v47
	v_mov_b32_e32 v45, v44
	v_mov_b32_e32 v47, v16
	v_add_f32_e32 v0, v18, v0
	v_fma_f32 v6, v7, s5, -v16
	v_sub_f32_e32 v18, v35, v25
	v_fmac_f32_e32 v45, 0x3f575c64, v7
	v_fma_f32 v44, v7, s2, -v44
	v_fmac_f32_e32 v47, 0xbf27a4f4, v7
	v_add_f32_e32 v1, v6, v1
	v_add_f32_e32 v6, v32, v30
	;; [unrolled: 1-line block ×3, first 2 shown]
	v_mul_f32_e32 v25, 0xbf4178ce, v18
	v_sub_f32_e32 v16, v32, v30
	v_fma_f32 v30, v6, s5, -v25
	v_add_f32_e32 v23, v30, v23
	v_mul_f32_e32 v30, 0xbf4178ce, v16
	v_fmac_f32_e32 v25, 0xbf27a4f4, v6
	v_add_f32_e32 v20, v25, v20
	v_fma_f32 v25, v7, s5, -v30
	v_add_f32_e32 v21, v25, v21
	v_mul_f32_e32 v25, 0x3f7d64f0, v18
	v_mov_b32_e32 v32, v30
	v_fma_f32 v30, v6, s4, -v25
	v_add_f32_e32 v24, v30, v24
	v_mul_f32_e32 v30, 0x3f7d64f0, v16
	v_fmac_f32_e32 v25, 0xbe11bafb, v6
	v_fmac_f32_e32 v32, 0xbf27a4f4, v7
	v_add_f32_e32 v22, v25, v22
	v_fma_f32 v25, v7, s4, -v30
	v_add_f32_e32 v32, v32, v33
	v_mov_b32_e32 v33, v30
	v_add_f32_e32 v25, v25, v26
	v_mul_f32_e32 v26, 0xbf0a6770, v18
	v_fmac_f32_e32 v33, 0xbe11bafb, v7
	v_fma_f32 v30, v6, s2, -v26
	v_mul_f32_e32 v35, 0xbf0a6770, v16
	v_fmac_f32_e32 v26, 0x3f575c64, v6
	v_add_f32_e32 v33, v33, v36
	v_mov_b32_e32 v36, v35
	v_add_f32_e32 v26, v26, v27
	v_fma_f32 v27, v7, s2, -v35
	v_mul_f32_e32 v35, 0xbe903f40, v18
	v_add_f32_e32 v50, v50, v54
	v_add_f32_e32 v30, v30, v37
	v_fma_f32 v37, v6, s6, -v35
	v_fmac_f32_e32 v35, 0xbf75a155, v6
	v_mul_f32_e32 v18, 0x3f68dda4, v18
	v_add_f32_e32 v48, v48, v52
	v_add_f32_e32 v46, v46, v50
	v_fmac_f32_e32 v36, 0x3f575c64, v7
	v_add_f32_e32 v27, v27, v40
	v_mul_f32_e32 v40, 0xbe903f40, v16
	v_add_f32_e32 v35, v35, v42
	v_fma_f32 v42, v6, s3, -v18
	v_add_f32_e32 v44, v44, v48
	v_add_f32_e32 v36, v36, v41
	v_mov_b32_e32 v41, v40
	v_fma_f32 v40, v7, s6, -v40
	v_add_f32_e32 v42, v42, v46
	v_mul_f32_e32 v16, 0x3f68dda4, v16
	v_fmac_f32_e32 v18, 0x3ed4b147, v6
	v_sub_f32_e32 v46, v29, v31
	v_add_f32_e32 v40, v40, v44
	v_add_f32_e32 v18, v18, v0
	v_fma_f32 v0, v7, s3, -v16
	v_add_f32_e32 v44, v34, v28
	v_mul_f32_e32 v6, 0xbe903f40, v46
	v_add_f32_e32 v37, v37, v43
	v_mov_b32_e32 v43, v16
	v_add_f32_e32 v16, v0, v1
	v_fma_f32 v0, v44, s6, -v6
	v_add_f32_e32 v49, v49, v53
	v_add_f32_e32 v0, v0, v23
	v_fmac_f32_e32 v6, 0xbf75a155, v44
	v_mul_f32_e32 v23, 0x3f0a6770, v46
	v_add_f32_e32 v45, v45, v49
	v_fmac_f32_e32 v41, 0xbf75a155, v7
	v_sub_f32_e32 v34, v34, v28
	v_add_f32_e32 v6, v6, v20
	v_fma_f32 v20, v44, s2, -v23
	v_add_f32_e32 v41, v41, v45
	v_fmac_f32_e32 v43, 0x3ed4b147, v7
	v_add_f32_e32 v45, v29, v31
	v_mul_f32_e32 v7, 0xbe903f40, v34
	v_add_f32_e32 v20, v20, v24
	v_mul_f32_e32 v24, 0x3f0a6770, v34
	v_fmac_f32_e32 v23, 0x3f575c64, v44
	v_mov_b32_e32 v1, v7
	v_fma_f32 v7, v45, s6, -v7
	v_add_f32_e32 v22, v23, v22
	v_fma_f32 v23, v45, s2, -v24
	v_mul_f32_e32 v28, 0xbf4178ce, v46
	v_mul_f32_e32 v29, 0xbf4178ce, v34
	v_add_f32_e32 v7, v7, v21
	v_mov_b32_e32 v21, v24
	v_add_f32_e32 v23, v23, v25
	v_fma_f32 v24, v44, s5, -v28
	v_mov_b32_e32 v25, v29
	v_fmac_f32_e32 v28, 0xbf27a4f4, v44
	v_add_f32_e32 v24, v24, v30
	v_fmac_f32_e32 v25, 0xbf27a4f4, v45
	v_add_f32_e32 v26, v28, v26
	v_fma_f32 v28, v45, s5, -v29
	v_mul_f32_e32 v30, 0x3f68dda4, v46
	v_add_f32_e32 v51, v51, v55
	v_fmac_f32_e32 v1, 0xbf75a155, v45
	v_fmac_f32_e32 v21, 0x3f575c64, v45
	v_add_f32_e32 v25, v25, v36
	v_add_f32_e32 v27, v28, v27
	v_fma_f32 v28, v44, s3, -v30
	v_mul_f32_e32 v31, 0x3f68dda4, v34
	v_fmac_f32_e32 v30, 0x3ed4b147, v44
	v_mul_f32_e32 v36, 0xbf7d64f0, v34
	v_add_f32_e32 v47, v47, v51
	v_add_f32_e32 v1, v1, v32
	;; [unrolled: 1-line block ×3, first 2 shown]
	v_mov_b32_e32 v29, v31
	v_add_f32_e32 v30, v30, v35
	v_mul_f32_e32 v35, 0xbf7d64f0, v46
	v_mov_b32_e32 v33, v36
	v_add_f32_e32 v43, v43, v47
	v_fmac_f32_e32 v29, 0x3ed4b147, v45
	v_fma_f32 v32, v44, s4, -v35
	v_fmac_f32_e32 v33, 0xbe11bafb, v45
	v_fmac_f32_e32 v35, 0xbe11bafb, v44
	ds_write2_b64 v9, v[4:5], v[0:1] offset1:88
	v_add_u32_e32 v0, 0x400, v9
	v_add_f32_e32 v28, v28, v37
	v_add_f32_e32 v29, v29, v41
	v_fma_f32 v31, v45, s3, -v31
	v_add_f32_e32 v32, v32, v42
	v_add_f32_e32 v33, v33, v43
	;; [unrolled: 1-line block ×3, first 2 shown]
	v_fma_f32 v18, v45, s4, -v36
	ds_write2_b64 v0, v[20:21], v[24:25] offset0:48 offset1:136
	v_add_u32_e32 v0, 0x800, v9
	v_add_f32_e32 v31, v31, v40
	v_add_f32_e32 v35, v18, v16
	ds_write2_b64 v0, v[28:29], v[32:33] offset0:96 offset1:184
	ds_write2_b64 v3, v[34:35], v[30:31] offset0:16 offset1:104
	;; [unrolled: 1-line block ×3, first 2 shown]
	ds_write_b64 v9, v[6:7] offset:7040
	s_waitcnt lgkmcnt(0)
	s_barrier
	ds_read_b64 v[2:3], v38
	s_add_u32 s6, s8, 0x1e30
	s_addc_u32 s7, s9, 0
	v_sub_u32_e32 v4, v39, v14
	v_cmp_ne_u32_e64 s[2:3], 0, v8
                                        ; implicit-def: $vgpr1
                                        ; implicit-def: $vgpr5
	s_and_saveexec_b64 s[4:5], s[2:3]
	s_xor_b64 s[4:5], exec, s[4:5]
	s_cbranch_execz .LBB0_25
; %bb.24:
	v_mov_b32_e32 v9, 0
	v_lshlrev_b64 v[0:1], 3, v[8:9]
	v_mov_b32_e32 v5, s7
	v_add_co_u32_e64 v0, s[2:3], s6, v0
	v_addc_co_u32_e64 v1, s[2:3], v5, v1, s[2:3]
	global_load_dwordx2 v[6:7], v[0:1], off
	ds_read_b64 v[0:1], v4 offset:7744
	s_waitcnt lgkmcnt(0)
	v_add_f32_e32 v9, v0, v2
	v_sub_f32_e32 v0, v2, v0
	v_add_f32_e32 v5, v1, v3
	v_sub_f32_e32 v1, v3, v1
	v_mul_f32_e32 v3, 0.5, v0
	v_mul_f32_e32 v0, 0.5, v1
	;; [unrolled: 1-line block ×3, first 2 shown]
	s_waitcnt vmcnt(0)
	v_mul_f32_e32 v1, v7, v3
	v_fma_f32 v14, 0.5, v9, v1
	v_fma_f32 v5, v2, v7, v0
	v_fma_f32 v7, v2, v7, -v0
	v_fma_f32 v0, v9, 0.5, -v1
	v_fmac_f32_e32 v14, v6, v2
	v_fma_f32 v5, -v6, v3, v5
	v_fma_f32 v0, -v6, v2, v0
	ds_write_b32 v38, v14
	v_fma_f32 v1, -v6, v3, v7
                                        ; implicit-def: $vgpr2_vgpr3
.LBB0_25:
	s_andn2_saveexec_b64 s[2:3], s[4:5]
	s_cbranch_execz .LBB0_27
; %bb.26:
	ds_read_b32 v1, v39 offset:3876
	v_mov_b32_e32 v5, 0
	s_waitcnt lgkmcnt(1)
	v_add_f32_e32 v6, v2, v3
	v_sub_f32_e32 v0, v2, v3
	ds_write_b32 v38, v6
	s_waitcnt lgkmcnt(1)
	v_xor_b32_e32 v1, 0x80000000, v1
	ds_write_b32 v39, v1 offset:3876
	v_mov_b32_e32 v1, v5
.LBB0_27:
	s_or_b64 exec, exec, s[2:3]
	v_mov_b32_e32 v14, 0
	s_waitcnt lgkmcnt(0)
	v_lshlrev_b64 v[2:3], 3, v[13:14]
	v_mov_b32_e32 v6, s7
	v_add_co_u32_e64 v2, s[2:3], s6, v2
	v_addc_co_u32_e64 v3, s[2:3], v6, v3, s[2:3]
	global_load_dwordx2 v[2:3], v[2:3], off
	v_mov_b32_e32 v20, v14
	v_lshlrev_b64 v[6:7], 3, v[19:20]
	v_mov_b32_e32 v9, s7
	v_add_co_u32_e64 v6, s[2:3], s6, v6
	v_addc_co_u32_e64 v7, s[2:3], v9, v7, s[2:3]
	global_load_dwordx2 v[6:7], v[6:7], off
	v_mov_b32_e32 v18, v14
	v_lshlrev_b64 v[20:21], 3, v[17:18]
	v_mov_b32_e32 v16, v14
	v_add_co_u32_e64 v20, s[2:3], s6, v20
	v_addc_co_u32_e64 v21, s[2:3], v9, v21, s[2:3]
	global_load_dwordx2 v[20:21], v[20:21], off
	v_lshlrev_b64 v[22:23], 3, v[15:16]
	ds_write_b32 v38, v5 offset:4
	ds_write_b64 v4, v[0:1] offset:7744
	v_lshl_add_u32 v5, v13, 3, v39
	v_mov_b32_e32 v13, s7
	v_add_co_u32_e64 v22, s[2:3], s6, v22
	v_addc_co_u32_e64 v23, s[2:3], v13, v23, s[2:3]
	v_lshl_add_u32 v9, v19, 3, v39
	ds_read_b64 v[0:1], v5
	ds_read_b64 v[18:19], v4 offset:7040
	global_load_dwordx2 v[22:23], v[22:23], off
	s_waitcnt lgkmcnt(0)
	v_add_f32_e32 v13, v0, v18
	v_sub_f32_e32 v0, v0, v18
	v_add_f32_e32 v16, v1, v19
	v_sub_f32_e32 v1, v1, v19
	v_mul_f32_e32 v18, 0.5, v0
	v_mul_f32_e32 v16, 0.5, v16
	;; [unrolled: 1-line block ×3, first 2 shown]
	s_waitcnt vmcnt(3)
	v_mul_f32_e32 v19, v3, v18
	v_fma_f32 v1, v16, v3, v0
	v_fma_f32 v3, v16, v3, -v0
	v_fma_f32 v0, 0.5, v13, v19
	v_fma_f32 v1, -v2, v18, v1
	v_fma_f32 v13, v13, 0.5, -v19
	v_fmac_f32_e32 v0, v2, v16
	v_fma_f32 v3, -v2, v18, v3
	v_fma_f32 v2, -v2, v16, v13
	ds_write_b64 v5, v[0:1]
	ds_write_b64 v4, v[2:3] offset:7040
	ds_read_b64 v[0:1], v9
	ds_read_b64 v[2:3], v4 offset:6336
	v_lshl_add_u32 v5, v17, 3, v39
	s_waitcnt lgkmcnt(0)
	v_add_f32_e32 v13, v0, v2
	v_sub_f32_e32 v0, v0, v2
	v_add_f32_e32 v16, v1, v3
	v_sub_f32_e32 v1, v1, v3
	v_mul_f32_e32 v3, 0.5, v0
	v_mul_f32_e32 v2, 0.5, v16
	;; [unrolled: 1-line block ×3, first 2 shown]
	s_waitcnt vmcnt(2)
	v_mul_f32_e32 v16, v7, v3
	v_fma_f32 v1, v2, v7, v0
	v_fma_f32 v7, v2, v7, -v0
	v_fma_f32 v0, 0.5, v13, v16
	v_fma_f32 v1, -v6, v3, v1
	v_fma_f32 v13, v13, 0.5, -v16
	v_fmac_f32_e32 v0, v6, v2
	v_fma_f32 v3, -v6, v3, v7
	v_fma_f32 v2, -v6, v2, v13
	ds_write_b64 v9, v[0:1]
	ds_write_b64 v4, v[2:3] offset:6336
	ds_read_b64 v[0:1], v5
	ds_read_b64 v[2:3], v4 offset:5632
	v_lshl_add_u32 v6, v15, 3, v39
	s_waitcnt lgkmcnt(0)
	v_add_f32_e32 v7, v0, v2
	v_sub_f32_e32 v0, v0, v2
	v_add_f32_e32 v9, v1, v3
	v_sub_f32_e32 v1, v1, v3
	v_mul_f32_e32 v3, 0.5, v0
	v_mul_f32_e32 v2, 0.5, v9
	;; [unrolled: 1-line block ×3, first 2 shown]
	s_waitcnt vmcnt(1)
	v_mul_f32_e32 v9, v21, v3
	v_fma_f32 v1, v2, v21, v0
	v_fma_f32 v13, v2, v21, -v0
	v_fma_f32 v0, 0.5, v7, v9
	v_fma_f32 v1, -v20, v3, v1
	v_fma_f32 v7, v7, 0.5, -v9
	v_fmac_f32_e32 v0, v20, v2
	v_fma_f32 v3, -v20, v3, v13
	v_fma_f32 v2, -v20, v2, v7
	ds_write_b64 v5, v[0:1]
	ds_write_b64 v4, v[2:3] offset:5632
	ds_read_b64 v[0:1], v6
	ds_read_b64 v[2:3], v4 offset:4928
	s_waitcnt lgkmcnt(0)
	v_add_f32_e32 v5, v0, v2
	v_sub_f32_e32 v0, v0, v2
	v_add_f32_e32 v7, v1, v3
	v_sub_f32_e32 v1, v1, v3
	v_mul_f32_e32 v3, 0.5, v0
	v_mul_f32_e32 v2, 0.5, v7
	;; [unrolled: 1-line block ×3, first 2 shown]
	s_waitcnt vmcnt(0)
	v_mul_f32_e32 v7, v23, v3
	v_fma_f32 v1, v2, v23, v0
	v_fma_f32 v9, v2, v23, -v0
	v_fma_f32 v0, 0.5, v5, v7
	v_fma_f32 v1, -v22, v3, v1
	v_fma_f32 v5, v5, 0.5, -v7
	v_fmac_f32_e32 v0, v22, v2
	v_fma_f32 v3, -v22, v3, v9
	v_fma_f32 v2, -v22, v2, v5
	ds_write_b64 v6, v[0:1]
	ds_write_b64 v4, v[2:3] offset:4928
	s_and_saveexec_b64 s[2:3], vcc
	s_cbranch_execz .LBB0_29
; %bb.28:
	v_mov_b32_e32 v13, v14
	v_lshlrev_b64 v[0:1], 3, v[12:13]
	v_mov_b32_e32 v2, s7
	v_add_co_u32_e32 v0, vcc, s6, v0
	v_addc_co_u32_e32 v1, vcc, v2, v1, vcc
	global_load_dwordx2 v[0:1], v[0:1], off
	v_lshl_add_u32 v7, v12, 3, v39
	ds_read_b64 v[2:3], v7
	ds_read_b64 v[5:6], v4 offset:4224
	s_waitcnt lgkmcnt(0)
	v_add_f32_e32 v9, v2, v5
	v_sub_f32_e32 v2, v2, v5
	v_add_f32_e32 v12, v3, v6
	v_sub_f32_e32 v3, v3, v6
	v_mul_f32_e32 v6, 0.5, v2
	v_mul_f32_e32 v5, 0.5, v12
	;; [unrolled: 1-line block ×3, first 2 shown]
	s_waitcnt vmcnt(0)
	v_mul_f32_e32 v3, v1, v6
	v_fma_f32 v12, v5, v1, v2
	v_fma_f32 v13, v5, v1, -v2
	v_fma_f32 v1, 0.5, v9, v3
	v_fma_f32 v2, -v0, v6, v12
	v_fma_f32 v3, v9, 0.5, -v3
	v_fmac_f32_e32 v1, v0, v5
	v_fma_f32 v6, -v0, v6, v13
	v_fma_f32 v5, -v0, v5, v3
	ds_write_b64 v7, v[1:2]
	ds_write_b64 v4, v[5:6] offset:4224
.LBB0_29:
	s_or_b64 exec, exec, s[2:3]
	s_waitcnt lgkmcnt(0)
	s_barrier
	s_and_saveexec_b64 s[2:3], s[0:1]
	s_cbranch_execz .LBB0_32
; %bb.30:
	v_mov_b32_e32 v9, 0
	ds_read2_b64 v[2:5], v38 offset1:88
	v_mov_b32_e32 v0, s13
	v_add_co_u32_e32 v1, vcc, s12, v10
	v_lshlrev_b64 v[6:7], 3, v[8:9]
	v_add_u32_e32 v9, 0x400, v38
	v_addc_co_u32_e32 v0, vcc, v0, v11, vcc
	ds_read2_b64 v[9:12], v9 offset0:48 offset1:136
	v_add_co_u32_e32 v6, vcc, v1, v6
	v_add_u32_e32 v13, 0x800, v38
	v_addc_co_u32_e32 v7, vcc, v0, v7, vcc
	ds_read2_b64 v[13:16], v13 offset0:96 offset1:184
	s_waitcnt lgkmcnt(2)
	global_store_dwordx2 v[6:7], v[2:3], off
	global_store_dwordx2 v[6:7], v[4:5], off offset:704
	s_waitcnt lgkmcnt(1)
	global_store_dwordx2 v[6:7], v[9:10], off offset:1408
	global_store_dwordx2 v[6:7], v[11:12], off offset:2112
	s_waitcnt lgkmcnt(0)
	global_store_dwordx2 v[6:7], v[13:14], off offset:2816
	global_store_dwordx2 v[6:7], v[15:16], off offset:3520
	v_add_u32_e32 v2, 0x1000, v38
	ds_read2_b64 v[2:5], v2 offset0:16 offset1:104
	s_movk_i32 s0, 0x1000
	v_add_u32_e32 v9, 0x1400, v38
	ds_read2_b64 v[9:12], v9 offset0:64 offset1:152
	v_add_co_u32_e32 v6, vcc, s0, v6
	v_addc_co_u32_e32 v7, vcc, 0, v7, vcc
	s_movk_i32 s0, 0x57
	ds_read_b64 v[13:14], v38 offset:7040
	v_cmp_eq_u32_e32 vcc, s0, v8
	s_waitcnt lgkmcnt(2)
	global_store_dwordx2 v[6:7], v[2:3], off offset:128
	global_store_dwordx2 v[6:7], v[4:5], off offset:832
	s_waitcnt lgkmcnt(1)
	global_store_dwordx2 v[6:7], v[9:10], off offset:1536
	global_store_dwordx2 v[6:7], v[11:12], off offset:2240
	s_waitcnt lgkmcnt(0)
	global_store_dwordx2 v[6:7], v[13:14], off offset:2944
	s_and_b64 exec, exec, vcc
	s_cbranch_execz .LBB0_32
; %bb.31:
	ds_read_b64 v[2:3], v38 offset:7048
	v_add_co_u32_e32 v4, vcc, 0x1000, v1
	v_addc_co_u32_e32 v5, vcc, 0, v0, vcc
	s_waitcnt lgkmcnt(0)
	global_store_dwordx2 v[4:5], v[2:3], off offset:3648
.LBB0_32:
	s_endpgm
	.section	.rodata,"a",@progbits
	.p2align	6, 0x0
	.amdhsa_kernel fft_rtc_fwd_len968_factors_2_2_2_11_11_wgs_176_tpt_88_sp_ip_CI_unitstride_sbrr_R2C_dirReg
		.amdhsa_group_segment_fixed_size 0
		.amdhsa_private_segment_fixed_size 0
		.amdhsa_kernarg_size 88
		.amdhsa_user_sgpr_count 6
		.amdhsa_user_sgpr_private_segment_buffer 1
		.amdhsa_user_sgpr_dispatch_ptr 0
		.amdhsa_user_sgpr_queue_ptr 0
		.amdhsa_user_sgpr_kernarg_segment_ptr 1
		.amdhsa_user_sgpr_dispatch_id 0
		.amdhsa_user_sgpr_flat_scratch_init 0
		.amdhsa_user_sgpr_private_segment_size 0
		.amdhsa_uses_dynamic_stack 0
		.amdhsa_system_sgpr_private_segment_wavefront_offset 0
		.amdhsa_system_sgpr_workgroup_id_x 1
		.amdhsa_system_sgpr_workgroup_id_y 0
		.amdhsa_system_sgpr_workgroup_id_z 0
		.amdhsa_system_sgpr_workgroup_info 0
		.amdhsa_system_vgpr_workitem_id 0
		.amdhsa_next_free_vgpr 65
		.amdhsa_next_free_sgpr 22
		.amdhsa_reserve_vcc 1
		.amdhsa_reserve_flat_scratch 0
		.amdhsa_float_round_mode_32 0
		.amdhsa_float_round_mode_16_64 0
		.amdhsa_float_denorm_mode_32 3
		.amdhsa_float_denorm_mode_16_64 3
		.amdhsa_dx10_clamp 1
		.amdhsa_ieee_mode 1
		.amdhsa_fp16_overflow 0
		.amdhsa_exception_fp_ieee_invalid_op 0
		.amdhsa_exception_fp_denorm_src 0
		.amdhsa_exception_fp_ieee_div_zero 0
		.amdhsa_exception_fp_ieee_overflow 0
		.amdhsa_exception_fp_ieee_underflow 0
		.amdhsa_exception_fp_ieee_inexact 0
		.amdhsa_exception_int_div_zero 0
	.end_amdhsa_kernel
	.text
.Lfunc_end0:
	.size	fft_rtc_fwd_len968_factors_2_2_2_11_11_wgs_176_tpt_88_sp_ip_CI_unitstride_sbrr_R2C_dirReg, .Lfunc_end0-fft_rtc_fwd_len968_factors_2_2_2_11_11_wgs_176_tpt_88_sp_ip_CI_unitstride_sbrr_R2C_dirReg
                                        ; -- End function
	.section	.AMDGPU.csdata,"",@progbits
; Kernel info:
; codeLenInByte = 9324
; NumSgprs: 26
; NumVgprs: 65
; ScratchSize: 0
; MemoryBound: 0
; FloatMode: 240
; IeeeMode: 1
; LDSByteSize: 0 bytes/workgroup (compile time only)
; SGPRBlocks: 3
; VGPRBlocks: 16
; NumSGPRsForWavesPerEU: 26
; NumVGPRsForWavesPerEU: 65
; Occupancy: 3
; WaveLimiterHint : 1
; COMPUTE_PGM_RSRC2:SCRATCH_EN: 0
; COMPUTE_PGM_RSRC2:USER_SGPR: 6
; COMPUTE_PGM_RSRC2:TRAP_HANDLER: 0
; COMPUTE_PGM_RSRC2:TGID_X_EN: 1
; COMPUTE_PGM_RSRC2:TGID_Y_EN: 0
; COMPUTE_PGM_RSRC2:TGID_Z_EN: 0
; COMPUTE_PGM_RSRC2:TIDIG_COMP_CNT: 0
	.type	__hip_cuid_88e2a25b4fa94b9f,@object ; @__hip_cuid_88e2a25b4fa94b9f
	.section	.bss,"aw",@nobits
	.globl	__hip_cuid_88e2a25b4fa94b9f
__hip_cuid_88e2a25b4fa94b9f:
	.byte	0                               ; 0x0
	.size	__hip_cuid_88e2a25b4fa94b9f, 1

	.ident	"AMD clang version 19.0.0git (https://github.com/RadeonOpenCompute/llvm-project roc-6.4.0 25133 c7fe45cf4b819c5991fe208aaa96edf142730f1d)"
	.section	".note.GNU-stack","",@progbits
	.addrsig
	.addrsig_sym __hip_cuid_88e2a25b4fa94b9f
	.amdgpu_metadata
---
amdhsa.kernels:
  - .args:
      - .actual_access:  read_only
        .address_space:  global
        .offset:         0
        .size:           8
        .value_kind:     global_buffer
      - .offset:         8
        .size:           8
        .value_kind:     by_value
      - .actual_access:  read_only
        .address_space:  global
        .offset:         16
        .size:           8
        .value_kind:     global_buffer
      - .actual_access:  read_only
        .address_space:  global
        .offset:         24
        .size:           8
        .value_kind:     global_buffer
      - .offset:         32
        .size:           8
        .value_kind:     by_value
      - .actual_access:  read_only
        .address_space:  global
        .offset:         40
        .size:           8
        .value_kind:     global_buffer
      - .actual_access:  read_only
        .address_space:  global
        .offset:         48
        .size:           8
        .value_kind:     global_buffer
      - .offset:         56
        .size:           4
        .value_kind:     by_value
      - .actual_access:  read_only
        .address_space:  global
        .offset:         64
        .size:           8
        .value_kind:     global_buffer
      - .actual_access:  read_only
        .address_space:  global
        .offset:         72
        .size:           8
        .value_kind:     global_buffer
      - .address_space:  global
        .offset:         80
        .size:           8
        .value_kind:     global_buffer
    .group_segment_fixed_size: 0
    .kernarg_segment_align: 8
    .kernarg_segment_size: 88
    .language:       OpenCL C
    .language_version:
      - 2
      - 0
    .max_flat_workgroup_size: 176
    .name:           fft_rtc_fwd_len968_factors_2_2_2_11_11_wgs_176_tpt_88_sp_ip_CI_unitstride_sbrr_R2C_dirReg
    .private_segment_fixed_size: 0
    .sgpr_count:     26
    .sgpr_spill_count: 0
    .symbol:         fft_rtc_fwd_len968_factors_2_2_2_11_11_wgs_176_tpt_88_sp_ip_CI_unitstride_sbrr_R2C_dirReg.kd
    .uniform_work_group_size: 1
    .uses_dynamic_stack: false
    .vgpr_count:     65
    .vgpr_spill_count: 0
    .wavefront_size: 64
amdhsa.target:   amdgcn-amd-amdhsa--gfx906
amdhsa.version:
  - 1
  - 2
...

	.end_amdgpu_metadata
